;; amdgpu-corpus repo=ROCm/rocFFT kind=compiled arch=gfx950 opt=O3
	.text
	.amdgcn_target "amdgcn-amd-amdhsa--gfx950"
	.amdhsa_code_object_version 6
	.protected	fft_rtc_fwd_len96_factors_3_4_8_wgs_192_tpt_8_dim2_sp_ip_CI_sbcc_twdbase8_2step_dirReg ; -- Begin function fft_rtc_fwd_len96_factors_3_4_8_wgs_192_tpt_8_dim2_sp_ip_CI_sbcc_twdbase8_2step_dirReg
	.globl	fft_rtc_fwd_len96_factors_3_4_8_wgs_192_tpt_8_dim2_sp_ip_CI_sbcc_twdbase8_2step_dirReg
	.p2align	8
	.type	fft_rtc_fwd_len96_factors_3_4_8_wgs_192_tpt_8_dim2_sp_ip_CI_sbcc_twdbase8_2step_dirReg,@function
fft_rtc_fwd_len96_factors_3_4_8_wgs_192_tpt_8_dim2_sp_ip_CI_sbcc_twdbase8_2step_dirReg: ; @fft_rtc_fwd_len96_factors_3_4_8_wgs_192_tpt_8_dim2_sp_ip_CI_sbcc_twdbase8_2step_dirReg
; %bb.0:
	s_load_dwordx4 s[4:7], s[0:1], 0x10
	s_mov_b32 s3, 0
	s_waitcnt lgkmcnt(0)
	s_load_dwordx2 s[16:17], s[4:5], 0x8
	s_load_dwordx2 s[14:15], s[0:1], 0x50
	;; [unrolled: 1-line block ×3, first 2 shown]
	s_mov_b64 s[4:5], -1
	s_waitcnt lgkmcnt(0)
	s_add_u32 s8, s16, -1
	s_addc_u32 s9, s17, -1
	s_add_u32 s10, 0, 0xaaaa0000
	s_addc_u32 s11, 0, 42
	s_add_i32 s11, s11, 0xaaaaa80
	s_mul_hi_u32 s21, s10, 0xffffffe8
	s_sub_i32 s21, s21, s10
	s_mul_i32 s22, s11, 0xffffffe8
	s_mul_i32 s18, s10, 0xffffffe8
	s_add_i32 s21, s21, s22
	s_mul_hi_u32 s19, s11, s18
	s_mul_i32 s20, s11, s18
	s_mul_i32 s23, s10, s21
	s_mul_hi_u32 s18, s10, s18
	s_mul_hi_u32 s22, s10, s21
	s_add_u32 s18, s18, s23
	s_addc_u32 s22, 0, s22
	s_add_u32 s18, s18, s20
	s_mul_hi_u32 s23, s11, s21
	s_addc_u32 s18, s22, s19
	s_addc_u32 s19, s23, 0
	s_mul_i32 s20, s11, s21
	s_add_u32 s18, s18, s20
	v_mov_b32_e32 v1, s18
	s_addc_u32 s19, 0, s19
	v_add_co_u32_e32 v1, vcc, s10, v1
	s_cmp_lg_u64 vcc, 0
	s_addc_u32 s10, s11, s19
	v_readfirstlane_b32 s19, v1
	s_mul_i32 s18, s8, s10
	s_mul_hi_u32 s20, s8, s19
	s_mul_hi_u32 s11, s8, s10
	s_add_u32 s18, s20, s18
	s_addc_u32 s11, 0, s11
	s_mul_hi_u32 s21, s9, s19
	s_mul_i32 s19, s9, s19
	s_add_u32 s18, s18, s19
	s_mul_hi_u32 s20, s9, s10
	s_addc_u32 s11, s11, s21
	s_addc_u32 s18, s20, 0
	s_mul_i32 s10, s9, s10
	s_add_u32 s10, s11, s10
	s_addc_u32 s11, 0, s18
	s_add_u32 s18, s10, 1
	s_addc_u32 s19, s11, 0
	s_add_u32 s20, s10, 2
	s_mul_i32 s22, s11, 24
	s_mul_hi_u32 s23, s10, 24
	s_addc_u32 s21, s11, 0
	s_add_i32 s23, s23, s22
	s_mul_i32 s22, s10, 24
	v_mov_b32_e32 v1, s22
	v_sub_co_u32_e32 v1, vcc, s8, v1
	s_cmp_lg_u64 vcc, 0
	s_subb_u32 s8, s9, s23
	v_subrev_co_u32_e32 v2, vcc, 24, v1
	s_cmp_lg_u64 vcc, 0
	s_subb_u32 s9, s8, 0
	v_readfirstlane_b32 s22, v2
	s_cmp_gt_u32 s22, 23
	s_cselect_b32 s22, -1, 0
	s_cmp_eq_u32 s9, 0
	s_cselect_b32 s9, s22, -1
	s_cmp_lg_u32 s9, 0
	s_cselect_b32 s9, s20, s18
	s_cselect_b32 s18, s21, s19
	v_readfirstlane_b32 s19, v1
	s_cmp_gt_u32 s19, 23
	s_cselect_b32 s19, -1, 0
	s_cmp_eq_u32 s8, 0
	s_cselect_b32 s8, s19, -1
	s_cmp_lg_u32 s8, 0
	s_cselect_b32 s8, s9, s10
	s_cselect_b32 s11, s18, s11
	s_add_u32 s8, s8, 1
	s_addc_u32 s9, s11, 0
	v_mov_b64_e32 v[2:3], s[8:9]
	v_cmp_lt_u64_e32 vcc, s[2:3], v[2:3]
	s_mov_b64 s[20:21], 0
	s_cbranch_vccnz .LBB0_2
; %bb.1:
	v_cvt_f32_u32_e32 v1, s8
	s_sub_i32 s3, 0, s8
	v_rcp_iflag_f32_e32 v1, v1
	s_nop 0
	v_mul_f32_e32 v1, 0x4f7ffffe, v1
	v_cvt_u32_f32_e32 v1, v1
	s_nop 0
	v_readfirstlane_b32 s10, v1
	s_mul_i32 s3, s3, s10
	s_mul_hi_u32 s3, s10, s3
	s_add_i32 s10, s10, s3
	s_mul_hi_u32 s3, s2, s10
	s_mul_i32 s11, s3, s8
	s_sub_i32 s11, s2, s11
	s_add_i32 s10, s3, 1
	s_sub_i32 s18, s11, s8
	s_cmp_ge_u32 s11, s8
	s_cselect_b32 s3, s10, s3
	s_cselect_b32 s11, s18, s11
	s_add_i32 s10, s3, 1
	s_cmp_ge_u32 s11, s8
	s_cselect_b32 s20, s10, s3
.LBB0_2:
	s_mul_i32 s3, s20, s9
	s_mul_hi_u32 s9, s20, s8
	s_add_i32 s9, s9, s3
	s_mul_i32 s3, s20, s8
	s_sub_u32 s2, s2, s3
	s_subb_u32 s3, 0, s9
	s_load_dwordx4 s[8:11], s[6:7], 0x8
	s_mul_i32 s21, s3, 24
	s_mul_hi_u32 s3, s2, 24
	s_mul_i32 s23, s2, 24
	s_add_i32 s22, s3, s21
	s_waitcnt lgkmcnt(0)
	s_mul_i32 s6, s23, s9
	s_mul_hi_u32 s7, s23, s8
	s_mul_i32 s3, s22, s8
	s_add_i32 s6, s7, s6
	s_mul_i32 s7, s11, s20
	s_mul_hi_u32 s11, s10, s20
	s_add_i32 s3, s6, s3
	s_mul_i32 s6, s23, s8
	s_add_i32 s11, s11, s7
	s_mul_i32 s7, s10, s20
	s_add_u32 s6, s7, s6
	v_mul_u32_u24_e32 v1, 0xaab, v0
	s_load_dwordx2 s[18:19], s[0:1], 0x0
	s_addc_u32 s7, s11, s3
	v_lshrrev_b32_e32 v90, 16, v1
	v_mul_lo_u16_e32 v1, 24, v90
	s_add_u32 s10, s23, 24
	v_sub_u16_e32 v18, v0, v1
	v_mov_b32_e32 v19, 0
	s_addc_u32 s11, s22, 0
	v_mov_b64_e32 v[2:3], s[16:17]
	v_mad_u64_u32 v[20:21], s[2:3], s2, 24, v[18:19]
	v_cmp_gt_u64_e32 vcc, s[10:11], v[2:3]
	v_add_u32_e32 v21, s21, v21
	v_cmp_le_u64_e64 s[2:3], s[10:11], v[2:3]
	s_and_b64 vcc, exec, vcc
	v_or_b32_e32 v19, 32, v90
	v_add_u32_e32 v32, 8, v90
	v_or_b32_e32 v33, 16, v90
	v_add_u32_e32 v34, 24, v90
	s_cbranch_vccnz .LBB0_4
; %bb.3:
	v_mad_u64_u32 v[2:3], s[4:5], s8, v18, 0
	v_mov_b32_e32 v4, v3
	v_mad_u64_u32 v[4:5], s[4:5], s9, v18, v[4:5]
	v_mov_b32_e32 v3, v4
	v_mad_u64_u32 v[4:5], s[4:5], s12, v90, 0
	v_mov_b32_e32 v6, v5
	v_mad_u64_u32 v[6:7], s[4:5], s13, v90, v[6:7]
	s_lshl_b64 s[4:5], s[6:7], 3
	s_add_u32 s4, s14, s4
	s_addc_u32 s5, s15, s5
	v_mov_b32_e32 v5, v6
	v_lshl_add_u64 v[22:23], v[2:3], 3, s[4:5]
	v_mad_u64_u32 v[2:3], s[4:5], s12, v19, 0
	v_lshl_add_u64 v[10:11], v[4:5], 3, v[22:23]
	v_mov_b32_e32 v4, v3
	v_mad_u64_u32 v[4:5], s[4:5], s13, v19, v[4:5]
	v_mov_b32_e32 v3, v4
	v_or_b32_e32 v1, 64, v90
	v_lshl_add_u64 v[12:13], v[2:3], 3, v[22:23]
	v_mad_u64_u32 v[2:3], s[4:5], s12, v1, 0
	v_mov_b32_e32 v4, v3
	v_mad_u64_u32 v[4:5], s[4:5], s13, v1, v[4:5]
	v_mov_b32_e32 v3, v4
	v_add_u32_e32 v1, 8, v90
	v_lshl_add_u64 v[14:15], v[2:3], 3, v[22:23]
	v_mad_u64_u32 v[2:3], s[4:5], s12, v1, 0
	v_mov_b32_e32 v4, v3
	v_mad_u64_u32 v[4:5], s[4:5], s13, v1, v[4:5]
	v_mov_b32_e32 v3, v4
	v_add_u32_e32 v5, 40, v90
	;; [unrolled: 6-line block ×3, first 2 shown]
	v_lshl_add_u64 v[24:25], v[2:3], 3, v[22:23]
	v_mad_u64_u32 v[2:3], s[4:5], s12, v5, 0
	v_mov_b32_e32 v4, v3
	v_mad_u64_u32 v[4:5], s[4:5], s13, v5, v[4:5]
	v_mov_b32_e32 v3, v4
	v_or_b32_e32 v30, 16, v90
	v_lshl_add_u64 v[26:27], v[2:3], 3, v[22:23]
	global_load_dwordx2 v[8:9], v[10:11], off
	global_load_dwordx2 v[6:7], v[12:13], off
	;; [unrolled: 1-line block ×4, first 2 shown]
	v_mad_u64_u32 v[10:11], s[4:5], s12, v30, 0
	v_mov_b32_e32 v12, v11
	v_mad_u64_u32 v[12:13], s[4:5], s13, v30, v[12:13]
	v_mov_b32_e32 v11, v12
	v_or_b32_e32 v13, 48, v90
	v_lshl_add_u64 v[28:29], v[10:11], 3, v[22:23]
	v_mad_u64_u32 v[10:11], s[4:5], s12, v13, 0
	v_mov_b32_e32 v12, v11
	v_mad_u64_u32 v[12:13], s[4:5], s13, v13, v[12:13]
	v_mov_b32_e32 v11, v12
	v_or_b32_e32 v13, 0x50, v90
	v_lshl_add_u64 v[36:37], v[10:11], 3, v[22:23]
	v_mad_u64_u32 v[10:11], s[4:5], s12, v13, 0
	v_mov_b32_e32 v12, v11
	v_mad_u64_u32 v[12:13], s[4:5], s13, v13, v[12:13]
	v_mov_b32_e32 v11, v12
	v_add_u32_e32 v31, 24, v90
	v_lshl_add_u64 v[38:39], v[10:11], 3, v[22:23]
	global_load_dwordx2 v[16:17], v[24:25], off
	global_load_dwordx2 v[14:15], v[26:27], off
	;; [unrolled: 1-line block ×4, first 2 shown]
	v_mad_u64_u32 v[24:25], s[4:5], s12, v31, 0
	v_mov_b32_e32 v26, v25
	v_mad_u64_u32 v[26:27], s[4:5], s13, v31, v[26:27]
	v_mov_b32_e32 v25, v26
	v_add_u32_e32 v27, 56, v90
	v_lshl_add_u64 v[36:37], v[24:25], 3, v[22:23]
	v_mad_u64_u32 v[24:25], s[4:5], s12, v27, 0
	v_mov_b32_e32 v26, v25
	v_mad_u64_u32 v[26:27], s[4:5], s13, v27, v[26:27]
	v_mov_b32_e32 v25, v26
	v_add_u32_e32 v27, 0x58, v90
	v_lshl_add_u64 v[40:41], v[24:25], 3, v[22:23]
	v_mad_u64_u32 v[24:25], s[4:5], s12, v27, 0
	v_mov_b32_e32 v26, v25
	v_mad_u64_u32 v[26:27], s[4:5], s13, v27, v[26:27]
	v_mov_b32_e32 v25, v26
	v_lshl_add_u64 v[42:43], v[24:25], 3, v[22:23]
	global_load_dwordx2 v[28:29], v[38:39], off
	global_load_dwordx2 v[26:27], v[36:37], off
	;; [unrolled: 1-line block ×4, first 2 shown]
	s_cbranch_execz .LBB0_5
	s_branch .LBB0_10
.LBB0_4:
                                        ; implicit-def: $vgpr3
                                        ; implicit-def: $vgpr7
                                        ; implicit-def: $vgpr9
                                        ; implicit-def: $vgpr15
                                        ; implicit-def: $vgpr17
                                        ; implicit-def: $vgpr5
                                        ; implicit-def: $vgpr11
                                        ; implicit-def: $vgpr13
                                        ; implicit-def: $vgpr29
                                        ; implicit-def: $vgpr23
                                        ; implicit-def: $vgpr25
                                        ; implicit-def: $vgpr27
                                        ; implicit-def: $vgpr1
                                        ; implicit-def: $vgpr30
                                        ; implicit-def: $vgpr31
	s_andn2_b64 vcc, exec, s[4:5]
	s_cbranch_vccnz .LBB0_10
.LBB0_5:
	v_cmp_le_u64_e32 vcc, s[16:17], v[20:21]
                                        ; implicit-def: $vgpr1
                                        ; implicit-def: $vgpr30
                                        ; implicit-def: $vgpr31
	s_and_saveexec_b64 s[4:5], vcc
	s_xor_b64 s[4:5], exec, s[4:5]
; %bb.6:
	v_add_u32_e32 v1, 8, v90
	v_or_b32_e32 v30, 16, v90
	v_add_u32_e32 v31, 24, v90
                                        ; implicit-def: $vgpr32
                                        ; implicit-def: $vgpr33
                                        ; implicit-def: $vgpr34
; %bb.7:
	s_or_saveexec_b64 s[4:5], s[4:5]
                                        ; implicit-def: $vgpr3
                                        ; implicit-def: $vgpr7
                                        ; implicit-def: $vgpr9
                                        ; implicit-def: $vgpr15
                                        ; implicit-def: $vgpr17
                                        ; implicit-def: $vgpr5
                                        ; implicit-def: $vgpr11
                                        ; implicit-def: $vgpr13
                                        ; implicit-def: $vgpr29
                                        ; implicit-def: $vgpr23
                                        ; implicit-def: $vgpr25
                                        ; implicit-def: $vgpr27
	s_xor_b64 exec, exec, s[4:5]
	s_cbranch_execz .LBB0_9
; %bb.8:
	s_waitcnt vmcnt(9)
	v_mad_u64_u32 v[2:3], s[10:11], s8, v18, 0
	s_waitcnt vmcnt(8)
	v_mov_b32_e32 v4, v3
	v_mad_u64_u32 v[4:5], s[10:11], s9, v18, v[4:5]
	v_mov_b32_e32 v3, v4
	v_mad_u64_u32 v[4:5], s[10:11], s12, v90, 0
	;; [unrolled: 2-line block ×3, first 2 shown]
	s_lshl_b64 s[10:11], s[6:7], 3
	s_add_u32 s10, s14, s10
	s_addc_u32 s11, s15, s11
	v_mov_b32_e32 v5, v6
	s_waitcnt vmcnt(0)
	v_lshl_add_u64 v[22:23], v[2:3], 3, s[10:11]
	v_mad_u64_u32 v[2:3], s[10:11], s12, v19, 0
	v_lshl_add_u64 v[10:11], v[4:5], 3, v[22:23]
	v_mov_b32_e32 v4, v3
	v_mad_u64_u32 v[4:5], s[10:11], s13, v19, v[4:5]
	v_mov_b32_e32 v3, v4
	v_or_b32_e32 v1, 64, v90
	v_lshl_add_u64 v[12:13], v[2:3], 3, v[22:23]
	v_mad_u64_u32 v[2:3], s[10:11], s12, v1, 0
	v_mov_b32_e32 v4, v3
	v_mad_u64_u32 v[4:5], s[10:11], s13, v1, v[4:5]
	v_mov_b32_e32 v3, v4
	v_lshl_add_u64 v[14:15], v[2:3], 3, v[22:23]
	v_mad_u64_u32 v[2:3], s[10:11], s12, v32, 0
	v_mov_b32_e32 v4, v3
	v_mad_u64_u32 v[4:5], s[10:11], s13, v32, v[4:5]
	v_mov_b32_e32 v3, v4
	v_add_u32_e32 v1, 40, v90
	v_lshl_add_u64 v[16:17], v[2:3], 3, v[22:23]
	v_mad_u64_u32 v[2:3], s[10:11], s12, v1, 0
	v_mov_b32_e32 v4, v3
	v_mad_u64_u32 v[4:5], s[10:11], s13, v1, v[4:5]
	v_mov_b32_e32 v3, v4
	v_add_u32_e32 v1, 0x48, v90
	v_lshl_add_u64 v[24:25], v[2:3], 3, v[22:23]
	v_mad_u64_u32 v[2:3], s[10:11], s12, v1, 0
	v_mov_b32_e32 v4, v3
	v_mad_u64_u32 v[4:5], s[10:11], s13, v1, v[4:5]
	v_mov_b32_e32 v3, v4
	v_lshl_add_u64 v[26:27], v[2:3], 3, v[22:23]
	global_load_dwordx2 v[8:9], v[10:11], off
	global_load_dwordx2 v[6:7], v[12:13], off
	;; [unrolled: 1-line block ×4, first 2 shown]
	v_mad_u64_u32 v[10:11], s[10:11], s12, v33, 0
	v_mov_b32_e32 v12, v11
	v_mad_u64_u32 v[12:13], s[10:11], s13, v33, v[12:13]
	v_mov_b32_e32 v11, v12
	v_or_b32_e32 v1, 48, v90
	v_lshl_add_u64 v[28:29], v[10:11], 3, v[22:23]
	v_mad_u64_u32 v[10:11], s[10:11], s12, v1, 0
	v_mov_b32_e32 v12, v11
	v_mad_u64_u32 v[12:13], s[10:11], s13, v1, v[12:13]
	v_mov_b32_e32 v11, v12
	v_or_b32_e32 v1, 0x50, v90
	v_lshl_add_u64 v[30:31], v[10:11], 3, v[22:23]
	v_mad_u64_u32 v[10:11], s[10:11], s12, v1, 0
	v_mov_b32_e32 v12, v11
	v_mad_u64_u32 v[12:13], s[10:11], s13, v1, v[12:13]
	v_mov_b32_e32 v11, v12
	v_lshl_add_u64 v[36:37], v[10:11], 3, v[22:23]
	global_load_dwordx2 v[16:17], v[24:25], off
	global_load_dwordx2 v[14:15], v[26:27], off
	;; [unrolled: 1-line block ×4, first 2 shown]
	v_mad_u64_u32 v[24:25], s[10:11], s12, v34, 0
	v_mov_b32_e32 v26, v25
	v_mad_u64_u32 v[26:27], s[10:11], s13, v34, v[26:27]
	v_mov_b32_e32 v25, v26
	v_add_u32_e32 v1, 56, v90
	v_lshl_add_u64 v[30:31], v[24:25], 3, v[22:23]
	v_mad_u64_u32 v[24:25], s[10:11], s12, v1, 0
	v_mov_b32_e32 v26, v25
	v_mad_u64_u32 v[26:27], s[10:11], s13, v1, v[26:27]
	v_mov_b32_e32 v25, v26
	v_add_u32_e32 v1, 0x58, v90
	v_lshl_add_u64 v[38:39], v[24:25], 3, v[22:23]
	v_mad_u64_u32 v[24:25], s[10:11], s12, v1, 0
	v_mov_b32_e32 v26, v25
	v_mad_u64_u32 v[26:27], s[10:11], s13, v1, v[26:27]
	v_mov_b32_e32 v25, v26
	v_lshl_add_u64 v[40:41], v[24:25], 3, v[22:23]
	global_load_dwordx2 v[28:29], v[36:37], off
	global_load_dwordx2 v[26:27], v[30:31], off
	;; [unrolled: 1-line block ×4, first 2 shown]
	v_mov_b32_e32 v1, v32
	v_mov_b32_e32 v30, v33
	;; [unrolled: 1-line block ×3, first 2 shown]
.LBB0_9:
	s_or_b64 exec, exec, s[4:5]
.LBB0_10:
	s_waitcnt vmcnt(10)
	v_pk_add_f32 v[32:33], v[8:9], v[6:7]
	v_mul_u32_u24_e32 v40, 0x240, v90
	v_lshlrev_b32_e32 v53, 3, v18
	v_add3_u32 v42, 0, v40, v53
	s_waitcnt vmcnt(9)
	v_pk_add_f32 v[32:33], v[32:33], v[2:3]
	v_pk_add_f32 v[40:41], v[6:7], v[2:3]
	v_pk_add_f32 v[2:3], v[6:7], v[2:3] neg_lo:[0,1] neg_hi:[0,1]
	s_mov_b32 s4, 0x3f5db3d7
	v_pk_fma_f32 v[8:9], v[40:41], 0.5, v[8:9] op_sel_hi:[1,0,1] neg_lo:[1,0,0] neg_hi:[1,0,0]
	v_pk_mul_f32 v[2:3], v[2:3], s[4:5] op_sel_hi:[1,0]
	s_waitcnt vmcnt(7)
	v_pk_add_f32 v[34:35], v[4:5], v[16:17]
	v_pk_add_f32 v[6:7], v[8:9], v[2:3] op_sel:[0,1] op_sel_hi:[1,0]
	v_pk_add_f32 v[2:3], v[8:9], v[2:3] op_sel:[0,1] op_sel_hi:[1,0] neg_lo:[0,1] neg_hi:[0,1]
	v_mov_b32_e32 v8, v6
	v_mov_b32_e32 v9, v3
	;; [unrolled: 1-line block ×3, first 2 shown]
	s_waitcnt vmcnt(6)
	v_pk_add_f32 v[6:7], v[16:17], v[14:15]
	ds_write2_b64 v42, v[32:33], v[8:9] offset1:24
	v_pk_fma_f32 v[4:5], v[6:7], 0.5, v[4:5] op_sel_hi:[1,0,1] neg_lo:[1,0,0] neg_hi:[1,0,0]
	v_pk_add_f32 v[6:7], v[16:17], v[14:15] neg_lo:[0,1] neg_hi:[0,1]
	ds_write_b64 v42, v[2:3] offset:384
	v_pk_mul_f32 v[6:7], v[6:7], s[4:5] op_sel_hi:[1,0]
	v_mul_i32_i24_e32 v2, 0x240, v1
	v_pk_add_f32 v[8:9], v[4:5], v[6:7] op_sel:[0,1] op_sel_hi:[1,0]
	v_pk_add_f32 v[4:5], v[4:5], v[6:7] op_sel:[0,1] op_sel_hi:[1,0] neg_lo:[0,1] neg_hi:[0,1]
	v_add3_u32 v40, 0, v2, v53
	v_pk_add_f32 v[2:3], v[34:35], v[14:15]
	v_mov_b32_e32 v6, v8
	v_mov_b32_e32 v7, v5
	;; [unrolled: 1-line block ×3, first 2 shown]
	ds_write2_b64 v40, v[2:3], v[6:7] offset1:24
	ds_write_b64 v40, v[4:5] offset:384
	s_waitcnt vmcnt(3)
	v_pk_add_f32 v[4:5], v[28:29], v[10:11]
	v_pk_add_f32 v[6:7], v[10:11], v[28:29] neg_lo:[0,1] neg_hi:[0,1]
	v_pk_fma_f32 v[4:5], v[4:5], 0.5, v[12:13] op_sel_hi:[1,0,1] neg_lo:[1,0,0] neg_hi:[1,0,0]
	v_pk_mul_f32 v[6:7], v[6:7], s[4:5] op_sel_hi:[1,0]
	v_pk_add_f32 v[36:37], v[12:13], v[10:11]
	v_mul_i32_i24_e32 v2, 0x240, v30
	v_pk_add_f32 v[8:9], v[4:5], v[6:7] op_sel:[0,1] op_sel_hi:[1,0]
	v_pk_add_f32 v[4:5], v[4:5], v[6:7] op_sel:[0,1] op_sel_hi:[1,0] neg_lo:[0,1] neg_hi:[0,1]
	v_add3_u32 v41, 0, v2, v53
	v_pk_add_f32 v[2:3], v[28:29], v[36:37]
	v_mov_b32_e32 v6, v8
	v_mov_b32_e32 v7, v5
	;; [unrolled: 1-line block ×3, first 2 shown]
	ds_write2_b64 v41, v[2:3], v[6:7] offset1:24
	ds_write_b64 v41, v[4:5] offset:384
	s_waitcnt vmcnt(0)
	v_pk_add_f32 v[4:5], v[24:25], v[22:23]
	v_pk_add_f32 v[6:7], v[24:25], v[22:23] neg_lo:[0,1] neg_hi:[0,1]
	v_pk_fma_f32 v[4:5], v[4:5], 0.5, v[26:27] op_sel_hi:[1,0,1] neg_lo:[1,0,0] neg_hi:[1,0,0]
	v_pk_mul_f32 v[6:7], v[6:7], s[4:5] op_sel_hi:[1,0]
	v_pk_add_f32 v[38:39], v[26:27], v[24:25]
	v_mul_i32_i24_e32 v2, 0x240, v31
	v_pk_add_f32 v[8:9], v[4:5], v[6:7] op_sel:[0,1] op_sel_hi:[1,0]
	v_pk_add_f32 v[4:5], v[4:5], v[6:7] op_sel:[0,1] op_sel_hi:[1,0] neg_lo:[0,1] neg_hi:[0,1]
	v_add3_u32 v28, 0, v2, v53
	v_pk_add_f32 v[2:3], v[38:39], v[22:23]
	v_mov_b32_e32 v6, v8
	v_mov_b32_e32 v7, v5
	s_movk_i32 s4, 0xab
	ds_write2_b64 v28, v[2:3], v[6:7] offset1:24
	v_mul_lo_u16_sdwa v2, v30, s4 dst_sel:DWORD dst_unused:UNUSED_PAD src0_sel:BYTE_0 src1_sel:DWORD
	v_lshrrev_b16_e32 v54, 9, v2
	v_mul_lo_u16_e32 v2, 3, v54
	v_mov_b32_e32 v55, 3
	v_sub_u16_e32 v58, v30, v2
	v_mul_u32_u24_sdwa v2, v58, v55 dst_sel:DWORD dst_unused:UNUSED_PAD src0_sel:BYTE_0 src1_sel:DWORD
	v_mov_b32_e32 v5, v9
	v_lshlrev_b32_e32 v6, 3, v2
	ds_write_b64 v28, v[4:5] offset:384
	s_waitcnt lgkmcnt(0)
	s_barrier
	global_load_dwordx4 v[2:5], v6, s[18:19]
	global_load_dwordx2 v[16:17], v6, s[18:19] offset:16
	v_mul_lo_u16_sdwa v52, v1, s4 dst_sel:DWORD dst_unused:UNUSED_PAD src0_sel:BYTE_0 src1_sel:DWORD
	v_lshrrev_b16_e32 v59, 9, v52
	v_mul_lo_u16_e32 v6, 3, v59
	v_sub_u16_e32 v60, v1, v6
	v_mul_u32_u24_sdwa v6, v60, v55 dst_sel:DWORD dst_unused:UNUSED_PAD src0_sel:BYTE_0 src1_sel:DWORD
	v_lshlrev_b32_e32 v6, 3, v6
	global_load_dwordx4 v[8:11], v6, s[18:19]
	global_load_dwordx2 v[36:37], v6, s[18:19] offset:16
	v_mul_lo_u16_e32 v61, 0x56, v90
	v_mul_lo_u16_sdwa v6, v61, v55 dst_sel:DWORD dst_unused:UNUSED_PAD src0_sel:BYTE_1 src1_sel:DWORD
	v_sub_u16_e32 v62, v90, v6
	v_mul_u32_u24_sdwa v6, v62, v55 dst_sel:DWORD dst_unused:UNUSED_PAD src0_sel:BYTE_0 src1_sel:DWORD
	v_lshlrev_b32_e32 v6, 3, v6
	global_load_dwordx4 v[12:15], v6, s[18:19]
	global_load_dwordx2 v[38:39], v6, s[18:19] offset:16
	s_movk_i32 s4, 0xfe80
	v_mad_i32_i24 v6, v90, s4, v42
	ds_read2st64_b64 v[32:35], v6 offset0:15 offset1:18
	v_mad_i32_i24 v63, v31, s4, v28
	v_mad_i32_i24 v42, v30, s4, v41
	ds_read_b64 v[30:31], v6 offset:16896
	v_mad_i32_i24 v7, v1, s4, v40
	s_movk_i32 s4, 0x60
	v_cmp_gt_u32_e64 s[4:5], s4, v0
	s_waitcnt vmcnt(5)
	v_mov_b32_e32 v22, v3
	s_waitcnt lgkmcnt(1)
	v_pk_mul_f32 v[22:23], v[32:33], v[22:23] op_sel:[1,0] op_sel_hi:[0,1]
	v_pk_fma_f32 v[26:27], v[32:33], v[2:3], v[22:23] neg_lo:[0,0,1] neg_hi:[0,0,1]
	ds_read2st64_b64 v[22:25], v6 offset0:21 offset1:24
	v_pk_mul_f32 v[28:29], v[32:33], v[2:3] op_sel:[1,0] op_sel_hi:[0,1]
	v_mov_b32_e32 v27, v28
	v_pk_fma_f32 v[28:29], v[32:33], v[2:3], v[26:27] op_sel:[1,0,0] op_sel_hi:[0,1,1]
	v_mov_b32_e32 v2, v5
	s_waitcnt lgkmcnt(0)
	v_pk_mul_f32 v[2:3], v[24:25], v[2:3] op_sel:[1,0] op_sel_hi:[0,1]
	v_pk_fma_f32 v[40:41], v[24:25], v[4:5], v[2:3] neg_lo:[0,0,1] neg_hi:[0,0,1]
	v_pk_mul_f32 v[2:3], v[24:25], v[4:5] op_sel:[1,0] op_sel_hi:[0,1]
	v_mov_b32_e32 v3, v2
	v_pk_fma_f32 v[24:25], v[24:25], v[4:5], v[2:3] op_sel:[1,0,0] op_sel_hi:[0,1,1]
	s_waitcnt vmcnt(4)
	v_mov_b32_e32 v2, v17
	v_pk_mul_f32 v[2:3], v[30:31], v[2:3] op_sel:[1,0] op_sel_hi:[0,1]
	v_pk_fma_f32 v[48:49], v[30:31], v[16:17], v[2:3] neg_lo:[0,0,1] neg_hi:[0,0,1]
	v_pk_mul_f32 v[2:3], v[30:31], v[16:17] op_sel:[1,0] op_sel_hi:[0,1]
	v_mov_b32_e32 v3, v2
	ds_read_b64 v[42:43], v42
	ds_read_b64 v[44:45], v63
	;; [unrolled: 1-line block ×3, first 2 shown]
	v_pk_fma_f32 v[16:17], v[30:31], v[16:17], v[2:3] op_sel:[1,0,0] op_sel_hi:[0,1,1]
	ds_read2st64_b64 v[2:5], v6 offset1:12
	s_waitcnt vmcnt(3)
	v_mov_b32_e32 v16, v11
	v_mov_b32_e32 v41, v25
	;; [unrolled: 1-line block ×3, first 2 shown]
	v_pk_mul_f32 v[24:25], v[22:23], v[16:17] op_sel_hi:[1,0]
	v_mov_b32_e32 v49, v17
	v_pk_fma_f32 v[50:51], v[22:23], v[10:11], v[24:25] op_sel:[0,0,1] op_sel_hi:[1,1,0] neg_lo:[0,0,1] neg_hi:[0,0,1]
	v_pk_fma_f32 v[10:11], v[22:23], v[10:11], v[24:25] op_sel:[0,0,1] op_sel_hi:[1,0,0]
	s_waitcnt lgkmcnt(0)
	v_pk_mul_f32 v[22:23], v[8:9], v[4:5] op_sel:[0,1]
	v_pk_add_f32 v[40:41], v[42:43], v[40:41] neg_lo:[0,1] neg_hi:[0,1]
	v_pk_add_f32 v[16:17], v[26:27], v[48:49] neg_lo:[0,1] neg_hi:[0,1]
	v_pk_fma_f32 v[56:57], v[8:9], v[4:5], v[22:23] op_sel:[0,0,1] op_sel_hi:[1,1,0] neg_lo:[0,0,1] neg_hi:[0,0,1]
	v_pk_fma_f32 v[4:5], v[8:9], v[4:5], v[22:23] op_sel:[0,0,1] op_sel_hi:[1,0,0]
	v_pk_fma_f32 v[8:9], v[42:43], 2.0, v[40:41] op_sel_hi:[1,0,1] neg_lo:[0,0,1] neg_hi:[0,0,1]
	v_pk_fma_f32 v[22:23], v[26:27], 2.0, v[16:17] op_sel_hi:[1,0,1] neg_lo:[0,0,1] neg_hi:[0,0,1]
	ds_read2st64_b64 v[30:33], v6 offset0:27 offset1:30
	v_pk_add_f32 v[26:27], v[8:9], v[22:23] neg_lo:[0,1] neg_hi:[0,1]
	v_pk_add_f32 v[28:29], v[40:41], v[16:17] op_sel:[0,1] op_sel_hi:[1,0]
	v_pk_fma_f32 v[22:23], v[8:9], 2.0, v[26:27] op_sel_hi:[1,0,1] neg_lo:[0,0,1] neg_hi:[0,0,1]
	v_mov_b32_e32 v8, 12
	v_mul_u32_u24_sdwa v4, v61, v8 dst_sel:DWORD dst_unused:UNUSED_PAD src0_sel:BYTE_1 src1_sel:DWORD
	v_or_b32_sdwa v4, v4, v62 dst_sel:DWORD dst_unused:UNUSED_PAD src0_sel:DWORD src1_sel:BYTE_0
	v_mul_u32_u24_e32 v4, 0xc0, v4
	v_add3_u32 v9, 0, v4, v53
	v_mul_u32_u24_e32 v4, 12, v59
	v_or_b32_sdwa v4, v4, v60 dst_sel:DWORD dst_unused:UNUSED_PAD src0_sel:DWORD src1_sel:BYTE_0
	v_mul_u32_u24_e32 v4, 0xc0, v4
	v_add3_u32 v28, 0, v4, v53
	v_mov_b32_e32 v57, v5
	s_waitcnt vmcnt(2) lgkmcnt(0)
	v_pk_mul_f32 v[4:5], v[32:33], v[36:37] op_sel:[0,1]
	v_mov_b32_e32 v51, v11
	v_pk_fma_f32 v[10:11], v[32:33], v[36:37], v[4:5] op_sel:[0,0,1] op_sel_hi:[1,1,0] neg_lo:[0,0,1] neg_hi:[0,0,1]
	v_pk_fma_f32 v[4:5], v[32:33], v[36:37], v[4:5] op_sel:[0,0,1] op_sel_hi:[1,0,0]
	s_waitcnt vmcnt(1)
	v_pk_mul_f32 v[36:37], v[12:13], v[44:45] op_sel:[0,1]
	v_mov_b32_e32 v11, v5
	v_pk_fma_f32 v[42:43], v[12:13], v[44:45], v[36:37] op_sel:[0,0,1] op_sel_hi:[1,1,0] neg_lo:[0,0,1] neg_hi:[0,0,1]
	v_pk_fma_f32 v[12:13], v[12:13], v[44:45], v[36:37] op_sel:[0,0,1] op_sel_hi:[1,0,0]
	v_pk_add_f32 v[4:5], v[46:47], v[50:51] neg_lo:[0,1] neg_hi:[0,1]
	v_mov_b32_e32 v43, v13
	v_pk_mul_f32 v[12:13], v[14:15], v[34:35] op_sel:[0,1]
	v_pk_add_f32 v[10:11], v[56:57], v[10:11] neg_lo:[0,1] neg_hi:[0,1]
	v_pk_fma_f32 v[36:37], v[14:15], v[34:35], v[12:13] op_sel:[0,0,1] op_sel_hi:[1,1,0] neg_lo:[0,0,1] neg_hi:[0,0,1]
	v_pk_fma_f32 v[12:13], v[14:15], v[34:35], v[12:13] op_sel:[0,0,1] op_sel_hi:[1,0,0]
	v_pk_add_f32 v[24:25], v[40:41], v[16:17] op_sel:[0,1] op_sel_hi:[1,0] neg_lo:[0,1] neg_hi:[0,1]
	v_mov_b32_e32 v37, v13
	s_waitcnt vmcnt(0)
	v_pk_mul_f32 v[12:13], v[38:39], v[30:31] op_sel:[0,1]
	v_pk_fma_f32 v[16:17], v[46:47], 2.0, v[4:5] op_sel_hi:[1,0,1] neg_lo:[0,0,1] neg_hi:[0,0,1]
	v_pk_fma_f32 v[14:15], v[38:39], v[30:31], v[12:13] op_sel:[0,0,1] op_sel_hi:[1,1,0] neg_lo:[0,0,1] neg_hi:[0,0,1]
	v_pk_fma_f32 v[12:13], v[38:39], v[30:31], v[12:13] op_sel:[0,0,1] op_sel_hi:[1,0,0]
	v_pk_fma_f32 v[32:33], v[56:57], 2.0, v[10:11] op_sel_hi:[1,0,1] neg_lo:[0,0,1] neg_hi:[0,0,1]
	v_mov_b32_e32 v15, v13
	v_pk_add_f32 v[12:13], v[2:3], v[36:37] neg_lo:[0,1] neg_hi:[0,1]
	v_pk_add_f32 v[14:15], v[42:43], v[14:15] neg_lo:[0,1] neg_hi:[0,1]
	v_pk_fma_f32 v[2:3], v[2:3], 2.0, v[12:13] op_sel_hi:[1,0,1] neg_lo:[0,0,1] neg_hi:[0,0,1]
	v_pk_fma_f32 v[30:31], v[42:43], 2.0, v[14:15] op_sel_hi:[1,0,1] neg_lo:[0,0,1] neg_hi:[0,0,1]
	v_pk_add_f32 v[34:35], v[12:13], v[14:15] op_sel:[0,1] op_sel_hi:[1,0] neg_lo:[0,1] neg_hi:[0,1]
	v_pk_add_f32 v[14:15], v[12:13], v[14:15] op_sel:[0,1] op_sel_hi:[1,0]
	v_pk_add_f32 v[30:31], v[2:3], v[30:31] neg_lo:[0,1] neg_hi:[0,1]
	v_mov_b32_e32 v35, v15
	v_pk_fma_f32 v[2:3], v[2:3], 2.0, v[30:31] op_sel_hi:[1,0,1] neg_lo:[0,0,1] neg_hi:[0,0,1]
	v_pk_fma_f32 v[12:13], v[12:13], 2.0, v[34:35] op_sel_hi:[1,0,1] neg_lo:[0,0,1] neg_hi:[0,0,1]
	s_barrier
	ds_write2_b64 v9, v[2:3], v[12:13] offset1:72
	ds_write2_b64 v9, v[30:31], v[34:35] offset0:144 offset1:216
	v_pk_add_f32 v[2:3], v[4:5], v[10:11] op_sel:[0,1] op_sel_hi:[1,0] neg_lo:[0,1] neg_hi:[0,1]
	v_pk_add_f32 v[10:11], v[4:5], v[10:11] op_sel:[0,1] op_sel_hi:[1,0]
	v_pk_add_f32 v[32:33], v[16:17], v[32:33] neg_lo:[0,1] neg_hi:[0,1]
	v_mov_b32_e32 v3, v11
	v_pk_fma_f32 v[16:17], v[16:17], 2.0, v[32:33] op_sel_hi:[1,0,1] neg_lo:[0,0,1] neg_hi:[0,0,1]
	v_pk_fma_f32 v[4:5], v[4:5], 2.0, v[2:3] op_sel_hi:[1,0,1] neg_lo:[0,0,1] neg_hi:[0,0,1]
	ds_write2_b64 v28, v[16:17], v[4:5] offset1:72
	ds_write2_b64 v28, v[32:33], v[2:3] offset0:144 offset1:216
	v_mul_u32_u24_e32 v2, 12, v54
	v_or_b32_sdwa v2, v2, v58 dst_sel:DWORD dst_unused:UNUSED_PAD src0_sel:DWORD src1_sel:BYTE_0
	v_mov_b32_e32 v25, v29
	v_mul_u32_u24_e32 v2, 0xc0, v2
	v_add3_u32 v2, 0, v2, v53
	v_pk_fma_f32 v[30:31], v[40:41], 2.0, v[24:25] op_sel_hi:[1,0,1] neg_lo:[0,0,1] neg_hi:[0,0,1]
	ds_write2_b64 v2, v[22:23], v[30:31] offset1:72
	ds_write2_b64 v2, v[26:27], v[24:25] offset0:144 offset1:216
	v_add_u32_e32 v2, 0x100, v6
	s_waitcnt lgkmcnt(0)
	s_barrier
	ds_read2st64_b64 v[2:5], v2 offset0:4 offset1:13
	ds_read_b64 v[40:41], v6
	ds_read_b64 v[48:49], v6 offset:9216
	ds_read_b64 v[46:47], v6 offset:11520
	;; [unrolled: 1-line block ×3, first 2 shown]
	ds_read_b64 v[50:51], v63
	ds_read_b64 v[42:43], v6 offset:16128
                                        ; implicit-def: $vgpr38
                                        ; implicit-def: $vgpr36
                                        ; implicit-def: $vgpr34
                                        ; implicit-def: $vgpr32
	s_and_saveexec_b64 s[10:11], s[4:5]
	s_cbranch_execz .LBB0_12
; %bb.11:
	ds_read_b64 v[30:31], v6 offset:3840
	ds_read_b64 v[26:27], v6 offset:6144
	;; [unrolled: 1-line block ×6, first 2 shown]
	ds_read_b64 v[22:23], v7
	ds_read_b64 v[32:33], v6 offset:17664
	s_waitcnt lgkmcnt(5)
	v_mov_b32_e32 v29, v25
.LBB0_12:
	s_or_b64 exec, exec, s[10:11]
	v_mul_lo_u16_e32 v0, 22, v90
	v_mul_lo_u16_sdwa v0, v0, v8 dst_sel:DWORD dst_unused:UNUSED_PAD src0_sel:BYTE_1 src1_sel:DWORD
	s_load_dwordx2 s[0:1], s[0:1], 0x8
	v_sub_u16_e32 v0, v90, v0
	v_and_b32_e32 v25, 0xff, v0
	v_mul_u32_u24_e32 v0, 7, v25
	v_mul_lo_u32 v28, v20, v25
	v_lshlrev_b32_e32 v0, 3, v0
	v_lshlrev_b32_sdwa v53, v55, v28 dst_sel:DWORD dst_unused:UNUSED_PAD src0_sel:DWORD src1_sel:BYTE_0
	v_lshlrev_b32_sdwa v54, v55, v28 dst_sel:DWORD dst_unused:UNUSED_PAD src0_sel:DWORD src1_sel:BYTE_1
	v_add_u32_e32 v92, 12, v25
	global_load_dwordx4 v[14:17], v0, s[18:19] offset:72
	global_load_dwordx4 v[10:13], v0, s[18:19] offset:88
	;; [unrolled: 1-line block ×3, first 2 shown]
	v_add_u32_e32 v91, 24, v25
	s_waitcnt lgkmcnt(0)
	global_load_dwordx2 v[56:57], v53, s[0:1]
	global_load_dwordx2 v[58:59], v54, s[0:1] offset:2048
	v_mul_lo_u32 v54, v20, v92
	v_mul_lo_u32 v60, v20, v91
	v_lshlrev_b32_sdwa v65, v55, v54 dst_sel:DWORD dst_unused:UNUSED_PAD src0_sel:DWORD src1_sel:BYTE_0
	v_add_u32_e32 v28, 36, v25
	v_or_b32_e32 v53, 48, v25
	v_lshlrev_b32_sdwa v54, v55, v54 dst_sel:DWORD dst_unused:UNUSED_PAD src0_sel:DWORD src1_sel:BYTE_1
	v_lshlrev_b32_sdwa v72, v55, v60 dst_sel:DWORD dst_unused:UNUSED_PAD src0_sel:DWORD src1_sel:BYTE_0
	v_lshlrev_b32_sdwa v73, v55, v60 dst_sel:DWORD dst_unused:UNUSED_PAD src0_sel:DWORD src1_sel:BYTE_1
	global_load_dwordx2 v[60:61], v65, s[0:1]
	global_load_dwordx2 v[62:63], v54, s[0:1] offset:2048
	v_mul_lo_u32 v64, v20, v28
	v_mul_lo_u32 v53, v20, v53
	v_lshlrev_b32_sdwa v54, v55, v64 dst_sel:DWORD dst_unused:UNUSED_PAD src0_sel:DWORD src1_sel:BYTE_0
	v_lshlrev_b32_sdwa v74, v55, v64 dst_sel:DWORD dst_unused:UNUSED_PAD src0_sel:DWORD src1_sel:BYTE_1
	v_lshlrev_b32_sdwa v75, v55, v53 dst_sel:DWORD dst_unused:UNUSED_PAD src0_sel:DWORD src1_sel:BYTE_0
	v_lshlrev_b32_sdwa v53, v55, v53 dst_sel:DWORD dst_unused:UNUSED_PAD src0_sel:DWORD src1_sel:BYTE_1
	global_load_dwordx2 v[64:65], v72, s[0:1]
	global_load_dwordx2 v[66:67], v73, s[0:1] offset:2048
	global_load_dwordx2 v[68:69], v54, s[0:1]
	global_load_dwordx2 v[70:71], v74, s[0:1] offset:2048
	;; [unrolled: 2-line block ×3, first 2 shown]
	v_add_u32_e32 v95, 0x54, v25
	v_add_u32_e32 v93, 0x48, v25
	v_mul_lo_u32 v72, v20, v95
	v_mul_lo_u32 v53, v20, v93
	v_lshlrev_b32_sdwa v76, v55, v72 dst_sel:DWORD dst_unused:UNUSED_PAD src0_sel:DWORD src1_sel:BYTE_0
	v_lshlrev_b32_sdwa v54, v55, v53 dst_sel:DWORD dst_unused:UNUSED_PAD src0_sel:DWORD src1_sel:BYTE_0
	v_lshlrev_b32_sdwa v53, v55, v53 dst_sel:DWORD dst_unused:UNUSED_PAD src0_sel:DWORD src1_sel:BYTE_1
	v_lshlrev_b32_sdwa v77, v55, v72 dst_sel:DWORD dst_unused:UNUSED_PAD src0_sel:DWORD src1_sel:BYTE_1
	global_load_dwordx2 v[72:73], v76, s[0:1]
	global_load_dwordx2 v[74:75], v77, s[0:1] offset:2048
	global_load_dwordx2 v[84:85], v53, s[0:1] offset:2048
	global_load_dwordx2 v[86:87], v54, s[0:1]
	global_load_dwordx2 v[88:89], v0, s[18:19] offset:120
	v_add_u32_e32 v94, 60, v25
	v_mul_lo_u32 v0, v20, v94
	v_lshlrev_b32_sdwa v53, v55, v0 dst_sel:DWORD dst_unused:UNUSED_PAD src0_sel:DWORD src1_sel:BYTE_0
	v_lshlrev_b32_sdwa v0, v55, v0 dst_sel:DWORD dst_unused:UNUSED_PAD src0_sel:DWORD src1_sel:BYTE_1
	global_load_dwordx2 v[76:77], v53, s[0:1]
	global_load_dwordx2 v[78:79], v0, s[0:1] offset:2048
	v_mov_b32_e32 v0, v3
	v_mov_b32_e32 v96, v47
	;; [unrolled: 1-line block ×3, first 2 shown]
	s_andn2_b64 vcc, exec, s[2:3]
	s_waitcnt vmcnt(19)
	v_pk_mul_f32 v[98:99], v[16:17], v[50:51] op_sel:[0,1]
	v_pk_mul_f32 v[100:101], v[14:15], v[2:3] op_sel_hi:[1,0]
	v_pk_fma_f32 v[110:111], v[16:17], v[50:51], v[98:99] op_sel:[0,0,1] op_sel_hi:[1,1,0] neg_lo:[0,0,1] neg_hi:[0,0,1]
	v_pk_fma_f32 v[16:17], v[16:17], v[50:51], v[98:99] op_sel:[0,0,1] op_sel_hi:[1,0,0]
	v_pk_fma_f32 v[50:51], v[14:15], v[0:1], v[100:101] op_sel:[0,0,1] op_sel_hi:[1,1,0]
	s_waitcnt vmcnt(18)
	v_pk_mul_f32 v[104:105], v[12:13], v[48:49] op_sel:[0,1]
	s_waitcnt vmcnt(17)
	v_pk_mul_f32 v[106:107], v[6:7], v[46:47] op_sel_hi:[1,0]
	v_pk_mul_f32 v[108:109], v[8:9], v[44:45] op_sel:[0,1]
	v_pk_fma_f32 v[2:3], v[14:15], v[2:3], v[100:101] op_sel:[0,1,1] op_sel_hi:[1,1,0] neg_lo:[1,0,0] neg_hi:[1,0,0]
	v_pk_fma_f32 v[14:15], v[12:13], v[48:49], v[104:105] op_sel:[0,0,1] op_sel_hi:[1,1,0] neg_lo:[0,0,1] neg_hi:[0,0,1]
	v_pk_fma_f32 v[12:13], v[12:13], v[48:49], v[104:105] op_sel:[0,0,1] op_sel_hi:[1,0,0]
	v_pk_fma_f32 v[48:49], v[6:7], v[96:97], v[106:107] op_sel:[0,0,1] op_sel_hi:[1,1,0]
	v_pk_fma_f32 v[6:7], v[6:7], v[46:47], v[106:107] op_sel:[0,1,1] op_sel_hi:[1,1,0] neg_lo:[1,0,0] neg_hi:[1,0,0]
	s_waitcnt vmcnt(13)
	v_mul_f32_e32 v0, v61, v63
	v_fma_f32 v114, v60, v62, -v0
	v_pk_fma_f32 v[46:47], v[8:9], v[44:45], v[108:109] op_sel:[0,0,1] op_sel_hi:[1,1,0] neg_lo:[0,0,1] neg_hi:[0,0,1]
	v_pk_fma_f32 v[8:9], v[8:9], v[44:45], v[108:109] op_sel:[0,0,1] op_sel_hi:[1,0,0]
	v_mul_f32_e32 v53, v57, v59
	s_waitcnt vmcnt(9)
	v_mul_f32_e32 v0, v69, v71
	v_fma_f32 v117, v68, v70, -v0
	s_waitcnt vmcnt(7)
	v_mul_f32_e32 v0, v81, v83
	v_fma_f32 v119, v80, v82, -v0
	v_mul_f32_e32 v118, v80, v83
	v_fmac_f32_e32 v118, v81, v82
	v_mul_f32_e32 v112, v56, v59
	v_fma_f32 v96, v56, v58, -v53
	v_fmac_f32_e32 v112, v57, v58
	s_waitcnt vmcnt(4)
	v_mov_b32_e32 v0, v85
	s_waitcnt vmcnt(3)
	v_pk_mul_f32 v[44:45], v[86:87], v[0:1] op_sel:[1,0] op_sel_hi:[0,1]
	v_pk_fma_f32 v[80:81], v[86:87], v[84:85], v[44:45] neg_lo:[0,0,1] neg_hi:[0,0,1]
	v_pk_mul_f32 v[44:45], v[86:87], v[84:85] op_sel:[1,0] op_sel_hi:[0,1]
	v_mov_b32_e32 v0, v45
	v_pk_fma_f32 v[82:83], v[86:87], v[84:85], v[0:1] op_sel:[1,0,0] op_sel_hi:[0,1,1]
	v_mov_b32_e32 v0, v43
	s_waitcnt vmcnt(2)
	v_pk_mul_f32 v[44:45], v[88:89], v[42:43] op_sel_hi:[1,0]
	v_pk_mul_f32 v[102:103], v[10:11], v[4:5] op_sel_hi:[1,0]
	v_pk_fma_f32 v[56:57], v[88:89], v[0:1], v[44:45] op_sel:[0,0,1] op_sel_hi:[1,1,0]
	v_lshrrev_b16_e32 v0, 11, v52
	v_mul_lo_u16_e32 v0, 12, v0
	v_sub_u16_e32 v0, v1, v0
	v_and_b32_e32 v12, 0xff, v0
	v_pk_fma_f32 v[4:5], v[10:11], v[4:5], v[102:103] op_sel:[0,1,1] op_sel_hi:[1,1,0] neg_lo:[1,0,0] neg_hi:[1,0,0]
	v_pk_fma_f32 v[10:11], v[10:11], v[54:55], v[102:103] op_sel:[0,0,1] op_sel_hi:[1,1,0]
	v_mov_b32_e32 v111, v17
	v_mul_u32_u24_e32 v0, 7, v12
	v_mov_b32_e32 v15, v13
	v_mov_b32_e32 v47, v9
	v_mul_f32_e32 v2, v65, v67
	v_pk_fma_f32 v[42:43], v[88:89], v[42:43], v[44:45] op_sel:[0,1,1] op_sel_hi:[1,1,0] neg_lo:[1,0,0] neg_hi:[1,0,0]
	v_mov_b32_e32 v11, v5
	v_lshlrev_b32_e32 v88, 3, v0
	v_pk_add_f32 v[0:1], v[40:41], v[14:15] neg_lo:[0,1] neg_hi:[0,1]
	v_pk_add_f32 v[4:5], v[110:111], v[46:47] neg_lo:[0,1] neg_hi:[0,1]
	v_fma_f32 v115, v64, v66, -v2
	v_mov_b32_e32 v51, v3
	v_mov_b32_e32 v49, v7
	v_pk_fma_f32 v[2:3], v[40:41], 2.0, v[0:1] op_sel_hi:[1,0,1] neg_lo:[0,0,1] neg_hi:[0,0,1]
	v_pk_fma_f32 v[6:7], v[110:111], 2.0, v[4:5] op_sel_hi:[1,0,1] neg_lo:[0,0,1] neg_hi:[0,0,1]
	v_mov_b32_e32 v57, v43
	v_pk_add_f32 v[86:87], v[2:3], v[6:7] neg_lo:[0,1] neg_hi:[0,1]
	v_pk_add_f32 v[42:43], v[50:51], v[48:49] neg_lo:[0,1] neg_hi:[0,1]
	;; [unrolled: 1-line block ×3, first 2 shown]
	v_fma_f32 v6, v2, 2.0, -v86
	v_fma_f32 v3, v3, 2.0, -v87
	v_mov_b32_e32 v2, v5
	v_pk_fma_f32 v[8:9], v[50:51], 2.0, v[42:43] op_sel_hi:[1,0,1] neg_lo:[0,0,1] neg_hi:[0,0,1]
	v_pk_fma_f32 v[10:11], v[10:11], 2.0, v[84:85] op_sel_hi:[1,0,1] neg_lo:[0,0,1] neg_hi:[0,0,1]
	v_pk_add_f32 v[98:99], v[0:1], v[2:3] neg_lo:[0,1] neg_hi:[0,1]
	v_mov_b32_e32 v2, v1
	v_pk_add_f32 v[100:101], v[2:3], v[4:5]
	v_pk_add_f32 v[102:103], v[8:9], v[10:11] neg_lo:[0,1] neg_hi:[0,1]
	v_fma_f32 v121, v1, 2.0, -v100
	v_fma_f32 v1, v8, 2.0, -v102
	;; [unrolled: 1-line block ×4, first 2 shown]
	v_sub_f32_e32 v111, v3, v1
	v_sub_f32_e32 v110, v6, v0
	v_fma_f32 v107, v3, 2.0, -v111
	s_waitcnt vmcnt(0)
	v_mul_f32_e32 v89, v76, v78
	v_mul_f32_e32 v97, v76, v79
	v_fma_f32 v76, v6, 2.0, -v110
	v_mul_f32_e32 v0, v107, v112
	v_fma_f32 v54, v76, v96, -v0
	v_mul_lo_u32 v0, v20, v12
	v_add_u32_e32 v2, 12, v12
	v_lshlrev_b32_sdwa v1, v55, v0 dst_sel:DWORD dst_unused:UNUSED_PAD src0_sel:DWORD src1_sel:BYTE_0
	v_lshlrev_b32_sdwa v0, v55, v0 dst_sel:DWORD dst_unused:UNUSED_PAD src0_sel:DWORD src1_sel:BYTE_1
	v_mul_lo_u32 v2, v20, v2
	v_lshlrev_b32_sdwa v3, v55, v2 dst_sel:DWORD dst_unused:UNUSED_PAD src0_sel:DWORD src1_sel:BYTE_0
	v_lshlrev_b32_sdwa v2, v55, v2 dst_sel:DWORD dst_unused:UNUSED_PAD src0_sel:DWORD src1_sel:BYTE_1
	global_load_dwordx2 v[50:51], v1, s[0:1]
	global_load_dwordx2 v[52:53], v0, s[0:1] offset:2048
	global_load_dwordx2 v[46:47], v3, s[0:1]
	global_load_dwordx2 v[48:49], v2, s[0:1] offset:2048
	v_add_u32_e32 v0, 24, v12
	v_mul_lo_u32 v0, v20, v0
	v_add_u32_e32 v2, 36, v12
	v_mul_f32_e32 v113, v60, v63
	v_lshlrev_b32_sdwa v1, v55, v0 dst_sel:DWORD dst_unused:UNUSED_PAD src0_sel:DWORD src1_sel:BYTE_0
	v_lshlrev_b32_sdwa v0, v55, v0 dst_sel:DWORD dst_unused:UNUSED_PAD src0_sel:DWORD src1_sel:BYTE_1
	v_mul_lo_u32 v2, v20, v2
	v_fmac_f32_e32 v113, v61, v62
	v_lshlrev_b32_sdwa v3, v55, v2 dst_sel:DWORD dst_unused:UNUSED_PAD src0_sel:DWORD src1_sel:BYTE_0
	v_lshlrev_b32_sdwa v2, v55, v2 dst_sel:DWORD dst_unused:UNUSED_PAD src0_sel:DWORD src1_sel:BYTE_1
	global_load_dwordx2 v[60:61], v1, s[0:1]
	global_load_dwordx2 v[62:63], v0, s[0:1] offset:2048
	global_load_dwordx2 v[56:57], v3, s[0:1]
	global_load_dwordx2 v[58:59], v2, s[0:1] offset:2048
	v_or_b32_e32 v0, 48, v12
	v_mul_lo_u32 v0, v20, v0
	v_add_u32_e32 v2, 60, v12
	v_mul_f32_e32 v106, v64, v67
	v_lshlrev_b32_sdwa v1, v55, v0 dst_sel:DWORD dst_unused:UNUSED_PAD src0_sel:DWORD src1_sel:BYTE_0
	v_lshlrev_b32_sdwa v0, v55, v0 dst_sel:DWORD dst_unused:UNUSED_PAD src0_sel:DWORD src1_sel:BYTE_1
	v_mul_lo_u32 v2, v20, v2
	v_fmac_f32_e32 v106, v65, v66
	v_lshlrev_b32_sdwa v3, v55, v2 dst_sel:DWORD dst_unused:UNUSED_PAD src0_sel:DWORD src1_sel:BYTE_0
	v_lshlrev_b32_sdwa v2, v55, v2 dst_sel:DWORD dst_unused:UNUSED_PAD src0_sel:DWORD src1_sel:BYTE_1
	global_load_dwordx2 v[64:65], v1, s[0:1]
	global_load_dwordx2 v[66:67], v0, s[0:1] offset:2048
	global_load_dwordx2 v[16:17], v3, s[0:1]
	global_load_dwordx2 v[40:41], v2, s[0:1] offset:2048
	v_add_u32_e32 v0, 0x48, v12
	v_mul_lo_u32 v0, v20, v0
	v_lshlrev_b32_sdwa v104, v55, v0 dst_sel:DWORD dst_unused:UNUSED_PAD src0_sel:DWORD src1_sel:BYTE_0
	v_lshlrev_b32_sdwa v105, v55, v0 dst_sel:DWORD dst_unused:UNUSED_PAD src0_sel:DWORD src1_sel:BYTE_1
	v_add_u32_e32 v0, 0x54, v12
	v_mul_f32_e32 v116, v68, v71
	v_mul_lo_u32 v0, v20, v0
	v_fmac_f32_e32 v116, v69, v70
	v_lshlrev_b32_sdwa v108, v55, v0 dst_sel:DWORD dst_unused:UNUSED_PAD src0_sel:DWORD src1_sel:BYTE_0
	v_lshlrev_b32_sdwa v55, v55, v0 dst_sel:DWORD dst_unused:UNUSED_PAD src0_sel:DWORD src1_sel:BYTE_1
	global_load_dwordx2 v[68:69], v104, s[0:1]
	global_load_dwordx2 v[70:71], v105, s[0:1] offset:2048
	global_load_dwordx2 v[12:13], v108, s[0:1]
	global_load_dwordx2 v[14:15], v55, s[0:1] offset:2048
	global_load_dwordx2 v[44:45], v88, s[18:19] offset:120
	global_load_dwordx4 v[0:3], v88, s[18:19] offset:104
	global_load_dwordx4 v[4:7], v88, s[18:19] offset:88
	;; [unrolled: 1-line block ×3, first 2 shown]
	v_pk_add_f32 v[104:105], v[86:87], v[102:103] neg_lo:[0,1] neg_hi:[0,1]
	v_pk_add_f32 v[102:103], v[86:87], v[102:103]
	v_mul_f32_e32 v55, v76, v112
	v_fma_f32 v88, v87, 2.0, -v103
	v_fma_f32 v76, v86, 2.0, -v104
	v_mul_f32_e32 v86, v88, v106
	v_fma_f32 v86, v76, v115, -v86
	v_mul_f32_e32 v87, v76, v106
	v_mov_b32_e32 v76, v43
	v_fmac_f32_e32 v55, v107, v96
	v_pk_add_f32 v[106:107], v[76:77], v[84:85] neg_lo:[0,1] neg_hi:[0,1]
	v_mov_b32_e32 v76, v85
	v_pk_add_f32 v[108:109], v[42:43], v[76:77]
	v_fma_f32 v76, v43, 2.0, -v106
	v_mul_f32_e32 v43, v111, v118
	v_fma_f32 v42, v42, 2.0, -v108
	v_fma_f32 v84, v110, v119, -v43
	v_mul_f32_e32 v85, v110, v118
	v_mov_b32_e32 v110, 0x3f3504f3
	v_fmac_f32_e32 v87, v88, v115
	v_fmac_f32_e32 v85, v111, v119
	v_mov_b32_e32 v111, v78
	v_mov_b32_e32 v43, v77
	;; [unrolled: 1-line block ×3, first 2 shown]
	v_fmamk_f32 v88, v76, 0xbf3504f3, v120
	v_fmamk_f32 v96, v42, 0xbf3504f3, v121
	v_pk_fma_f32 v[42:43], v[42:43], v[78:79], v[88:89] neg_lo:[1,0,0] neg_hi:[1,0,0]
	v_pk_fma_f32 v[76:77], v[76:77], v[110:111], v[96:97]
	v_fma_f32 v78, v120, 2.0, -v42
	v_fma_f32 v79, v121, 2.0, -v76
	v_mul_f32_e32 v88, v79, v113
	v_mul_f32_e32 v89, v78, v113
	v_fma_f32 v88, v78, v114, -v88
	v_fmac_f32_e32 v89, v79, v114
	v_mov_b32_e32 v78, v77
	v_mov_b32_e32 v79, v42
	;; [unrolled: 1-line block ×4, first 2 shown]
	v_pk_mul_f32 v[76:77], v[76:77], v[78:79]
	v_mov_b32_e32 v102, v104
	v_pk_fma_f32 v[78:79], v[42:43], v[96:97], v[76:77] neg_lo:[0,0,1] neg_hi:[0,0,1]
	v_pk_fma_f32 v[42:43], v[42:43], v[96:97], v[76:77]
	v_mov_b32_e32 v111, v74
	v_mov_b32_e32 v79, v43
	;; [unrolled: 1-line block ×4, first 2 shown]
	v_pk_mul_f32 v[42:43], v[42:43], v[82:83] op_sel_hi:[1,0]
	v_mul_f32_e32 v82, v72, v74
	v_mov_b32_e32 v109, v73
	v_mov_b32_e32 v74, v110
	s_mov_b32 s0, 0x3f3504f3
	v_pk_fma_f32 v[76:77], v[104:105], v[80:81], v[42:43] neg_lo:[0,0,1] neg_hi:[0,0,1]
	v_pk_fma_f32 v[42:43], v[102:103], v[80:81], v[42:43] op_sel_hi:[1,0,1]
	v_mul_f32_e32 v83, v72, v75
	v_pk_fma_f32 v[80:81], v[108:109], v[74:75], v[100:101]
	v_mov_b32_e32 v77, v43
	v_mov_b32_e32 v72, v106
	v_pk_fma_f32 v[42:43], v[106:107], s[0:1], v[98:99]
	v_mov_b32_e32 v81, v83
	v_mov_b32_e32 v43, v82
	v_pk_fma_f32 v[72:73], v[72:73], v[110:111], v[80:81]
	v_pk_fma_f32 v[42:43], v[108:109], v[74:75], v[42:43] neg_lo:[1,0,0] neg_hi:[1,0,0]
	v_fma_f32 v80, v100, 2.0, -v72
	v_fma_f32 v75, v98, 2.0, -v42
	v_mul_f32_e32 v74, v80, v116
	v_fma_f32 v74, v75, v117, -v74
	v_mul_f32_e32 v75, v75, v116
	v_mov_b32_e32 v82, v73
	v_mov_b32_e32 v83, v42
	v_fmac_f32_e32 v75, v80, v117
	v_mov_b32_e32 v80, v43
	v_mov_b32_e32 v81, v72
	v_pk_mul_f32 v[82:83], v[72:73], v[82:83]
	s_nop 0
	v_pk_fma_f32 v[72:73], v[42:43], v[80:81], v[82:83] neg_lo:[0,0,1] neg_hi:[0,0,1]
	v_pk_fma_f32 v[42:43], v[42:43], v[80:81], v[82:83]
	s_nop 0
	v_mov_b32_e32 v73, v43
	s_cbranch_vccnz .LBB0_14
; %bb.13:
	v_mad_u64_u32 v[42:43], s[0:1], s8, v18, 0
	v_mov_b32_e32 v80, v43
	v_mad_u64_u32 v[80:81], s[0:1], s9, v18, v[80:81]
	v_mov_b32_e32 v43, v80
	;; [unrolled: 2-line block ×3, first 2 shown]
	v_mad_u64_u32 v[82:83], s[0:1], s13, v25, v[82:83]
	s_lshl_b64 s[0:1], s[6:7], 3
	s_add_u32 s0, s14, s0
	s_addc_u32 s1, s15, s1
	v_mov_b32_e32 v81, v82
	v_lshl_add_u64 v[42:43], v[42:43], 3, s[0:1]
	v_lshl_add_u64 v[80:81], v[80:81], 3, v[42:43]
	global_store_dwordx2 v[80:81], v[54:55], off
	v_mad_u64_u32 v[80:81], s[0:1], s12, v92, 0
	v_mov_b32_e32 v82, v81
	v_mad_u64_u32 v[82:83], s[0:1], s13, v92, v[82:83]
	v_mov_b32_e32 v81, v82
	v_lshl_add_u64 v[80:81], v[80:81], 3, v[42:43]
	global_store_dwordx2 v[80:81], v[88:89], off
	v_mad_u64_u32 v[80:81], s[0:1], s12, v91, 0
	v_mov_b32_e32 v82, v81
	v_mad_u64_u32 v[82:83], s[0:1], s13, v91, v[82:83]
	v_mov_b32_e32 v81, v82
	;; [unrolled: 6-line block ×3, first 2 shown]
	v_lshl_add_u64 v[80:81], v[80:81], 3, v[42:43]
	v_add_u32_e32 v83, 48, v25
	global_store_dwordx2 v[80:81], v[74:75], off
	v_mad_u64_u32 v[80:81], s[0:1], s12, v83, 0
	v_mov_b32_e32 v82, v81
	v_mad_u64_u32 v[82:83], s[0:1], s13, v83, v[82:83]
	v_mov_b32_e32 v81, v82
	v_lshl_add_u64 v[80:81], v[80:81], 3, v[42:43]
	global_store_dwordx2 v[80:81], v[84:85], off
	v_mad_u64_u32 v[80:81], s[0:1], s12, v94, 0
	v_mov_b32_e32 v82, v81
	v_mad_u64_u32 v[82:83], s[0:1], s13, v94, v[82:83]
	v_mov_b32_e32 v81, v82
	v_lshl_add_u64 v[80:81], v[80:81], 3, v[42:43]
	;; [unrolled: 6-line block ×4, first 2 shown]
	s_and_b64 s[0:1], s[4:5], exec
	global_store_dwordx2 v[80:81], v[72:73], off
	s_cbranch_execz .LBB0_15
	s_branch .LBB0_18
.LBB0_14:
	s_mov_b64 s[0:1], 0
                                        ; implicit-def: $vgpr42_vgpr43
.LBB0_15:
	v_cmp_gt_u64_e32 vcc, s[16:17], v[20:21]
                                        ; implicit-def: $vgpr42_vgpr43
	s_and_saveexec_b64 s[2:3], vcc
	s_cbranch_execz .LBB0_17
; %bb.16:
	v_mad_u64_u32 v[20:21], s[10:11], s8, v18, 0
	v_mov_b32_e32 v42, v21
	v_mad_u64_u32 v[42:43], s[8:9], s9, v18, v[42:43]
	v_mad_u64_u32 v[80:81], s[8:9], s12, v25, 0
	s_lshl_b64 s[6:7], s[6:7], 3
	v_mov_b32_e32 v18, v81
	s_add_u32 s6, s14, s6
	v_mov_b32_e32 v21, v42
	v_mad_u64_u32 v[42:43], s[8:9], s13, v25, v[18:19]
	s_addc_u32 s7, s15, s7
	v_mov_b32_e32 v81, v42
	v_lshl_add_u64 v[42:43], v[20:21], 3, s[6:7]
	v_lshl_add_u64 v[20:21], v[80:81], 3, v[42:43]
	global_store_dwordx2 v[20:21], v[54:55], off
	v_mad_u64_u32 v[20:21], s[6:7], s12, v92, 0
	v_mov_b32_e32 v18, v21
	v_mad_u64_u32 v[54:55], s[6:7], s13, v92, v[18:19]
	v_mov_b32_e32 v21, v54
	v_lshl_add_u64 v[20:21], v[20:21], 3, v[42:43]
	global_store_dwordx2 v[20:21], v[88:89], off
	v_mad_u64_u32 v[20:21], s[6:7], s12, v91, 0
	v_mov_b32_e32 v18, v21
	v_mad_u64_u32 v[54:55], s[6:7], s13, v91, v[18:19]
	v_mov_b32_e32 v21, v54
	;; [unrolled: 6-line block ×3, first 2 shown]
	v_lshl_add_u64 v[20:21], v[20:21], 3, v[42:43]
	v_add_u32_e32 v28, 48, v25
	global_store_dwordx2 v[20:21], v[74:75], off
	v_mad_u64_u32 v[20:21], s[6:7], s12, v28, 0
	v_mov_b32_e32 v18, v21
	v_mad_u64_u32 v[54:55], s[6:7], s13, v28, v[18:19]
	v_mov_b32_e32 v21, v54
	v_lshl_add_u64 v[20:21], v[20:21], 3, v[42:43]
	global_store_dwordx2 v[20:21], v[84:85], off
	v_mad_u64_u32 v[20:21], s[6:7], s12, v94, 0
	v_mov_b32_e32 v18, v21
	v_mad_u64_u32 v[54:55], s[6:7], s13, v94, v[18:19]
	v_mov_b32_e32 v21, v54
	v_lshl_add_u64 v[20:21], v[20:21], 3, v[42:43]
	v_add_u32_e32 v28, 0x48, v25
	global_store_dwordx2 v[20:21], v[78:79], off
	v_mad_u64_u32 v[20:21], s[6:7], s12, v28, 0
	v_mov_b32_e32 v18, v21
	v_mad_u64_u32 v[54:55], s[6:7], s13, v28, v[18:19]
	v_mov_b32_e32 v21, v54
	v_lshl_add_u64 v[20:21], v[20:21], 3, v[42:43]
	v_add_u32_e32 v25, 0x54, v25
	global_store_dwordx2 v[20:21], v[76:77], off
	v_mad_u64_u32 v[20:21], s[6:7], s12, v25, 0
	v_mov_b32_e32 v18, v21
	v_mad_u64_u32 v[54:55], s[6:7], s13, v25, v[18:19]
	v_mov_b32_e32 v21, v54
	s_andn2_b64 s[0:1], s[0:1], exec
	s_and_b64 s[4:5], s[4:5], exec
	v_lshl_add_u64 v[20:21], v[20:21], 3, v[42:43]
	s_or_b64 s[0:1], s[0:1], s[4:5]
	global_store_dwordx2 v[20:21], v[72:73], off
.LBB0_17:
	s_or_b64 exec, exec, s[2:3]
.LBB0_18:
	s_and_saveexec_b64 s[2:3], s[0:1]
	s_cbranch_execnz .LBB0_20
; %bb.19:
	s_endpgm
.LBB0_20:
	s_waitcnt vmcnt(16)
	v_mul_f32_e32 v21, v47, v49
	v_fma_f32 v54, v46, v48, -v21
	s_waitcnt vmcnt(14)
	v_mul_f32_e32 v21, v61, v63
	v_fma_f32 v72, v60, v62, -v21
	v_mul_f32_e32 v60, v60, v63
	s_waitcnt vmcnt(12)
	v_mul_f32_e32 v21, v57, v59
	v_mul_f32_e32 v55, v46, v49
	v_fmac_f32_e32 v60, v61, v62
	v_fma_f32 v61, v56, v58, -v21
	v_mul_f32_e32 v56, v56, v59
	s_waitcnt vmcnt(10)
	v_mul_f32_e32 v21, v65, v67
	v_fmac_f32_e32 v55, v47, v48
	v_fmac_f32_e32 v56, v57, v58
	v_fma_f32 v57, v64, v66, -v21
	s_waitcnt vmcnt(8)
	v_mul_f32_e32 v21, v16, v40
	v_mul_f32_e32 v25, v16, v41
	s_waitcnt vmcnt(6)
	v_mov_b32_e32 v16, v71
	v_pk_mul_f32 v[48:49], v[68:69], v[70:71] op_sel:[1,0] op_sel_hi:[0,1]
	v_mul_f32_e32 v18, v51, v53
	v_mul_f32_e32 v20, v50, v53
	v_pk_mul_f32 v[46:47], v[68:69], v[16:17] op_sel:[1,0] op_sel_hi:[0,1]
	v_mov_b32_e32 v16, v49
	v_fma_f32 v18, v50, v52, -v18
	v_fmac_f32_e32 v20, v51, v52
	v_pk_fma_f32 v[48:49], v[68:69], v[70:71], v[16:17] op_sel:[1,0,0] op_sel_hi:[0,1,1]
	v_mov_b32_e32 v16, v31
	s_waitcnt vmcnt(0)
	v_pk_mul_f32 v[50:51], v[30:31], v[8:9] op_sel_hi:[0,1]
	v_pk_fma_f32 v[52:53], v[16:17], v[8:9], v[50:51] op_sel:[0,0,1] op_sel_hi:[1,1,0]
	v_pk_fma_f32 v[8:9], v[16:17], v[8:9], v[50:51] op_sel:[0,0,1] op_sel_hi:[0,1,0] neg_lo:[1,0,0] neg_hi:[1,0,0]
	v_mov_b32_e32 v53, v9
	v_pk_mul_f32 v[8:9], v[26:27], v[10:11] op_sel:[1,0]
	v_mul_f32_e32 v58, v64, v67
	v_pk_fma_f32 v[30:31], v[26:27], v[10:11], v[8:9] op_sel:[0,0,1] op_sel_hi:[1,1,0] neg_lo:[0,0,1] neg_hi:[0,0,1]
	v_pk_fma_f32 v[8:9], v[26:27], v[10:11], v[8:9] op_sel:[0,0,1] op_sel_hi:[0,1,0]
	v_mov_b32_e32 v8, v29
	v_pk_mul_f32 v[10:11], v[24:25], v[4:5] op_sel_hi:[0,1]
	v_pk_fma_f32 v[26:27], v[8:9], v[4:5], v[10:11] op_sel:[0,0,1] op_sel_hi:[0,1,0]
	v_pk_fma_f32 v[4:5], v[8:9], v[4:5], v[10:11] op_sel:[0,0,1] op_sel_hi:[0,1,0] neg_lo:[1,0,0] neg_hi:[1,0,0]
	v_mov_b32_e32 v4, v39
	v_mov_b32_e32 v27, v5
	v_pk_mul_f32 v[4:5], v[4:5], v[6:7] op_sel_hi:[0,1]
	v_mov_b32_e32 v31, v9
	v_pk_fma_f32 v[8:9], v[38:39], v[6:7], v[4:5] op_sel:[0,0,1] op_sel_hi:[1,1,0] neg_lo:[0,0,1] neg_hi:[0,0,1]
	v_pk_fma_f32 v[4:5], v[38:39], v[6:7], v[4:5] op_sel:[0,0,1] op_sel_hi:[0,1,0]
	v_mov_b32_e32 v4, v37
	v_pk_mul_f32 v[6:7], v[36:37], v[0:1] op_sel_hi:[0,1]
	v_pk_fma_f32 v[10:11], v[4:5], v[0:1], v[6:7] op_sel:[0,0,1] op_sel_hi:[0,1,0]
	v_pk_fma_f32 v[0:1], v[4:5], v[0:1], v[6:7] op_sel:[0,0,1] op_sel_hi:[0,1,0] neg_lo:[1,0,0] neg_hi:[1,0,0]
	v_mov_b32_e32 v0, v35
	v_mov_b32_e32 v11, v1
	v_pk_mul_f32 v[0:1], v[0:1], v[2:3] op_sel_hi:[0,1]
	v_mov_b32_e32 v9, v5
	v_pk_fma_f32 v[4:5], v[34:35], v[2:3], v[0:1] op_sel:[0,0,1] op_sel_hi:[1,1,0] neg_lo:[0,0,1] neg_hi:[0,0,1]
	v_pk_fma_f32 v[0:1], v[34:35], v[2:3], v[0:1] op_sel:[0,0,1] op_sel_hi:[0,1,0]
	v_mov_b32_e32 v0, v33
	v_pk_mul_f32 v[2:3], v[32:33], v[44:45] op_sel_hi:[0,1]
	v_mov_b32_e32 v5, v1
	v_pk_fma_f32 v[6:7], v[0:1], v[44:45], v[2:3] op_sel:[0,0,1] op_sel_hi:[0,1,0]
	v_pk_fma_f32 v[0:1], v[0:1], v[44:45], v[2:3] op_sel:[0,0,1] op_sel_hi:[0,1,0] neg_lo:[1,0,0] neg_hi:[1,0,0]
	v_mov_b32_e32 v7, v1
	v_pk_add_f32 v[0:1], v[22:23], v[8:9] neg_lo:[0,1] neg_hi:[0,1]
	v_pk_add_f32 v[4:5], v[30:31], v[4:5] neg_lo:[0,1] neg_hi:[0,1]
	v_pk_fma_f32 v[2:3], v[22:23], 2.0, v[0:1] op_sel_hi:[1,0,1] neg_lo:[0,0,1] neg_hi:[0,0,1]
	v_pk_fma_f32 v[8:9], v[30:31], 2.0, v[4:5] op_sel_hi:[1,0,1] neg_lo:[0,0,1] neg_hi:[0,0,1]
	v_pk_add_f32 v[10:11], v[52:53], v[10:11] neg_lo:[0,1] neg_hi:[0,1]
	v_pk_add_f32 v[8:9], v[2:3], v[8:9] neg_lo:[0,1] neg_hi:[0,1]
	;; [unrolled: 1-line block ×3, first 2 shown]
	v_fma_f32 v24, v2, 2.0, -v8
	v_mov_b32_e32 v2, v5
	v_mov_b32_e32 v16, v1
	v_pk_fma_f32 v[22:23], v[52:53], 2.0, v[10:11] op_sel_hi:[1,0,1] neg_lo:[0,0,1] neg_hi:[0,0,1]
	v_pk_fma_f32 v[26:27], v[26:27], 2.0, v[6:7] op_sel_hi:[1,0,1] neg_lo:[0,0,1] neg_hi:[0,0,1]
	v_fma_f32 v28, v3, 2.0, -v9
	v_pk_add_f32 v[2:3], v[0:1], v[2:3] neg_lo:[0,1] neg_hi:[0,1]
	v_pk_add_f32 v[4:5], v[16:17], v[4:5]
	v_fma_f32 v34, v0, 2.0, -v2
	v_fma_f32 v35, v1, 2.0, -v4
	v_pk_add_f32 v[0:1], v[22:23], v[26:27] neg_lo:[0,1] neg_hi:[0,1]
	v_mov_b32_e32 v16, v11
	v_fma_f32 v26, v23, 2.0, -v1
	v_fma_f32 v27, v22, 2.0, -v0
	v_pk_add_f32 v[22:23], v[16:17], v[6:7] neg_lo:[0,1] neg_hi:[0,1]
	v_mov_b32_e32 v6, v7
	v_pk_add_f32 v[6:7], v[10:11], v[6:7]
	v_fma_f32 v16, v11, 2.0, -v22
	v_sub_f32_e32 v7, v24, v26
	v_sub_f32_e32 v11, v28, v27
	v_fma_f32 v24, v24, 2.0, -v7
	v_fma_f32 v28, v28, 2.0, -v11
	v_pk_add_f32 v[26:27], v[8:9], v[0:1] neg_lo:[0,1] neg_hi:[0,1]
	v_pk_add_f32 v[0:1], v[8:9], v[0:1]
	v_fmac_f32_e32 v58, v65, v66
	v_fma_f32 v29, v8, 2.0, -v26
	v_fma_f32 v30, v9, 2.0, -v1
	v_mul_f32_e32 v8, v28, v20
	v_mul_f32_e32 v9, v24, v20
	v_fma_f32 v10, v10, 2.0, -v6
	v_fma_f32 v8, v24, v18, -v8
	v_fmac_f32_e32 v9, v28, v18
	v_mul_f32_e32 v18, v30, v60
	v_mul_f32_e32 v31, v7, v58
	v_mov_b32_e32 v32, 0x3f3504f3
	v_fma_f32 v28, v29, v72, -v18
	v_mul_f32_e32 v18, v11, v58
	v_fmac_f32_e32 v31, v11, v57
	v_mov_b32_e32 v33, v40
	v_mov_b32_e32 v11, v17
	;; [unrolled: 1-line block ×3, first 2 shown]
	v_fmamk_f32 v20, v16, 0xbf3504f3, v34
	v_fmamk_f32 v24, v10, 0xbf3504f3, v35
	v_mul_f32_e32 v29, v29, v60
	v_pk_fma_f32 v[10:11], v[10:11], v[40:41], v[20:21] neg_lo:[1,0,0] neg_hi:[1,0,0]
	v_pk_fma_f32 v[16:17], v[16:17], v[32:33], v[24:25]
	v_fmac_f32_e32 v29, v30, v72
	v_fma_f32 v30, v7, v57, -v18
	v_fma_f32 v7, v34, 2.0, -v10
	v_fma_f32 v18, v35, 2.0, -v16
	v_mov_b32_e32 v34, v17
	v_mov_b32_e32 v35, v10
	;; [unrolled: 1-line block ×4, first 2 shown]
	v_pk_mul_f32 v[16:17], v[16:17], v[34:35]
	v_pk_fma_f32 v[46:47], v[68:69], v[70:71], v[46:47] neg_lo:[0,0,1] neg_hi:[0,0,1]
	v_pk_fma_f32 v[34:35], v[10:11], v[24:25], v[16:17] neg_lo:[0,0,1] neg_hi:[0,0,1]
	v_pk_fma_f32 v[10:11], v[10:11], v[24:25], v[16:17]
	v_mov_b32_e32 v16, v1
	v_mov_b32_e32 v17, v26
	;; [unrolled: 1-line block ×3, first 2 shown]
	v_pk_mul_f32 v[16:17], v[16:17], v[48:49] op_sel_hi:[1,0]
	s_mov_b32 s0, 0x3f3504f3
	v_mul_f32_e32 v20, v18, v55
	v_pk_fma_f32 v[0:1], v[0:1], v[46:47], v[16:17] op_sel_hi:[1,0,1]
	v_fma_f32 v20, v7, v54, -v20
	v_mul_f32_e32 v21, v7, v55
	v_pk_fma_f32 v[24:25], v[26:27], v[46:47], v[16:17] neg_lo:[0,0,1] neg_hi:[0,0,1]
	v_mul_f32_e32 v0, v12, v14
	v_mov_b32_e32 v33, v14
	v_pk_fma_f32 v[16:17], v[22:23], s[0:1], v[2:3]
	v_mov_b32_e32 v7, v13
	v_mov_b32_e32 v14, v32
	v_mul_f32_e32 v10, v12, v15
	v_mov_b32_e32 v12, v22
	v_pk_fma_f32 v[22:23], v[6:7], v[14:15], v[4:5]
	v_mov_b32_e32 v17, v0
	v_pk_fma_f32 v[6:7], v[6:7], v[14:15], v[16:17] neg_lo:[1,0,0] neg_hi:[1,0,0]
	v_mov_b32_e32 v23, v10
	v_fma_f32 v0, v2, 2.0, -v6
	v_pk_fma_f32 v[2:3], v[12:13], v[32:33], v[22:23]
	v_mov_b32_e32 v15, v6
	v_mov_b32_e32 v14, v3
	v_fma_f32 v10, v4, 2.0, -v2
	v_mov_b32_e32 v12, v7
	v_mov_b32_e32 v13, v2
	v_pk_mul_f32 v[2:3], v[2:3], v[14:15]
	v_mul_f32_e32 v4, v10, v56
	v_pk_fma_f32 v[14:15], v[6:7], v[12:13], v[2:3] neg_lo:[0,0,1] neg_hi:[0,0,1]
	v_pk_fma_f32 v[2:3], v[6:7], v[12:13], v[2:3]
	v_fma_f32 v4, v0, v61, -v4
	v_or_b32_e32 v2, 8, v90
	v_mad_u64_u32 v[6:7], s[0:1], s12, v2, 0
	v_mul_f32_e32 v5, v0, v56
	v_mov_b32_e32 v0, v7
	v_mad_u64_u32 v[12:13], s[0:1], s13, v2, v[0:1]
	v_mov_b32_e32 v7, v12
	v_lshl_add_u64 v[6:7], v[6:7], 3, v[42:43]
	v_add_u32_e32 v2, 20, v90
	global_store_dwordx2 v[6:7], v[8:9], off
	v_mad_u64_u32 v[6:7], s[0:1], s12, v2, 0
	v_mov_b32_e32 v0, v7
	v_mad_u64_u32 v[8:9], s[0:1], s13, v2, v[0:1]
	v_mov_b32_e32 v7, v8
	v_fmac_f32_e32 v21, v18, v54
	v_lshl_add_u64 v[6:7], v[6:7], 3, v[42:43]
	global_store_dwordx2 v[6:7], v[20:21], off
	v_mad_u64_u32 v[6:7], s[0:1], s12, v19, 0
	v_mov_b32_e32 v0, v7
	v_mad_u64_u32 v[8:9], s[0:1], s13, v19, v[0:1]
	v_mov_b32_e32 v7, v8
	v_lshl_add_u64 v[6:7], v[6:7], 3, v[42:43]
	v_add_u32_e32 v2, 44, v90
	global_store_dwordx2 v[6:7], v[28:29], off
	v_mad_u64_u32 v[6:7], s[0:1], s12, v2, 0
	v_mov_b32_e32 v0, v7
	v_mad_u64_u32 v[8:9], s[0:1], s13, v2, v[0:1]
	v_mov_b32_e32 v7, v8
	v_fmac_f32_e32 v5, v10, v61
	v_lshl_add_u64 v[6:7], v[6:7], 3, v[42:43]
	v_or_b32_e32 v2, 56, v90
	global_store_dwordx2 v[6:7], v[4:5], off
	v_mad_u64_u32 v[4:5], s[0:1], s12, v2, 0
	v_mov_b32_e32 v0, v5
	v_mad_u64_u32 v[6:7], s[0:1], s13, v2, v[0:1]
	v_mov_b32_e32 v5, v6
	v_lshl_add_u64 v[4:5], v[4:5], 3, v[42:43]
	v_add_u32_e32 v2, 0x44, v90
	global_store_dwordx2 v[4:5], v[30:31], off
	v_mad_u64_u32 v[4:5], s[0:1], s12, v2, 0
	v_mov_b32_e32 v0, v5
	v_mad_u64_u32 v[6:7], s[0:1], s13, v2, v[0:1]
	v_mov_b32_e32 v5, v6
	v_lshl_add_u64 v[4:5], v[4:5], 3, v[42:43]
	v_mov_b32_e32 v35, v11
	v_or_b32_e32 v2, 0x50, v90
	global_store_dwordx2 v[4:5], v[34:35], off
	v_mad_u64_u32 v[4:5], s[0:1], s12, v2, 0
	v_mov_b32_e32 v0, v5
	v_mad_u64_u32 v[6:7], s[0:1], s13, v2, v[0:1]
	v_mov_b32_e32 v5, v6
	v_lshl_add_u64 v[4:5], v[4:5], 3, v[42:43]
	v_mov_b32_e32 v25, v1
	global_store_dwordx2 v[4:5], v[24:25], off
	v_add_u32_e32 v4, 0x5c, v90
	v_mad_u64_u32 v[0:1], s[0:1], s12, v4, 0
	v_mov_b32_e32 v2, v1
	v_mad_u64_u32 v[4:5], s[0:1], s13, v4, v[2:3]
	v_mov_b32_e32 v1, v4
	v_lshl_add_u64 v[0:1], v[0:1], 3, v[42:43]
	v_mov_b32_e32 v15, v3
	global_store_dwordx2 v[0:1], v[14:15], off
	s_endpgm
	.section	.rodata,"a",@progbits
	.p2align	6, 0x0
	.amdhsa_kernel fft_rtc_fwd_len96_factors_3_4_8_wgs_192_tpt_8_dim2_sp_ip_CI_sbcc_twdbase8_2step_dirReg
		.amdhsa_group_segment_fixed_size 0
		.amdhsa_private_segment_fixed_size 0
		.amdhsa_kernarg_size 88
		.amdhsa_user_sgpr_count 2
		.amdhsa_user_sgpr_dispatch_ptr 0
		.amdhsa_user_sgpr_queue_ptr 0
		.amdhsa_user_sgpr_kernarg_segment_ptr 1
		.amdhsa_user_sgpr_dispatch_id 0
		.amdhsa_user_sgpr_kernarg_preload_length 0
		.amdhsa_user_sgpr_kernarg_preload_offset 0
		.amdhsa_user_sgpr_private_segment_size 0
		.amdhsa_uses_dynamic_stack 0
		.amdhsa_enable_private_segment 0
		.amdhsa_system_sgpr_workgroup_id_x 1
		.amdhsa_system_sgpr_workgroup_id_y 0
		.amdhsa_system_sgpr_workgroup_id_z 0
		.amdhsa_system_sgpr_workgroup_info 0
		.amdhsa_system_vgpr_workitem_id 0
		.amdhsa_next_free_vgpr 122
		.amdhsa_next_free_sgpr 24
		.amdhsa_accum_offset 124
		.amdhsa_reserve_vcc 1
		.amdhsa_float_round_mode_32 0
		.amdhsa_float_round_mode_16_64 0
		.amdhsa_float_denorm_mode_32 3
		.amdhsa_float_denorm_mode_16_64 3
		.amdhsa_dx10_clamp 1
		.amdhsa_ieee_mode 1
		.amdhsa_fp16_overflow 0
		.amdhsa_tg_split 0
		.amdhsa_exception_fp_ieee_invalid_op 0
		.amdhsa_exception_fp_denorm_src 0
		.amdhsa_exception_fp_ieee_div_zero 0
		.amdhsa_exception_fp_ieee_overflow 0
		.amdhsa_exception_fp_ieee_underflow 0
		.amdhsa_exception_fp_ieee_inexact 0
		.amdhsa_exception_int_div_zero 0
	.end_amdhsa_kernel
	.text
.Lfunc_end0:
	.size	fft_rtc_fwd_len96_factors_3_4_8_wgs_192_tpt_8_dim2_sp_ip_CI_sbcc_twdbase8_2step_dirReg, .Lfunc_end0-fft_rtc_fwd_len96_factors_3_4_8_wgs_192_tpt_8_dim2_sp_ip_CI_sbcc_twdbase8_2step_dirReg
                                        ; -- End function
	.section	.AMDGPU.csdata,"",@progbits
; Kernel info:
; codeLenInByte = 7596
; NumSgprs: 30
; NumVgprs: 122
; NumAgprs: 0
; TotalNumVgprs: 122
; ScratchSize: 0
; MemoryBound: 0
; FloatMode: 240
; IeeeMode: 1
; LDSByteSize: 0 bytes/workgroup (compile time only)
; SGPRBlocks: 3
; VGPRBlocks: 15
; NumSGPRsForWavesPerEU: 30
; NumVGPRsForWavesPerEU: 122
; AccumOffset: 124
; Occupancy: 4
; WaveLimiterHint : 1
; COMPUTE_PGM_RSRC2:SCRATCH_EN: 0
; COMPUTE_PGM_RSRC2:USER_SGPR: 2
; COMPUTE_PGM_RSRC2:TRAP_HANDLER: 0
; COMPUTE_PGM_RSRC2:TGID_X_EN: 1
; COMPUTE_PGM_RSRC2:TGID_Y_EN: 0
; COMPUTE_PGM_RSRC2:TGID_Z_EN: 0
; COMPUTE_PGM_RSRC2:TIDIG_COMP_CNT: 0
; COMPUTE_PGM_RSRC3_GFX90A:ACCUM_OFFSET: 30
; COMPUTE_PGM_RSRC3_GFX90A:TG_SPLIT: 0
	.text
	.p2alignl 6, 3212836864
	.fill 256, 4, 3212836864
	.type	__hip_cuid_fb898b2ee429bc48,@object ; @__hip_cuid_fb898b2ee429bc48
	.section	.bss,"aw",@nobits
	.globl	__hip_cuid_fb898b2ee429bc48
__hip_cuid_fb898b2ee429bc48:
	.byte	0                               ; 0x0
	.size	__hip_cuid_fb898b2ee429bc48, 1

	.ident	"AMD clang version 19.0.0git (https://github.com/RadeonOpenCompute/llvm-project roc-6.4.0 25133 c7fe45cf4b819c5991fe208aaa96edf142730f1d)"
	.section	".note.GNU-stack","",@progbits
	.addrsig
	.addrsig_sym __hip_cuid_fb898b2ee429bc48
	.amdgpu_metadata
---
amdhsa.kernels:
  - .agpr_count:     0
    .args:
      - .actual_access:  read_only
        .address_space:  global
        .offset:         0
        .size:           8
        .value_kind:     global_buffer
      - .address_space:  global
        .offset:         8
        .size:           8
        .value_kind:     global_buffer
      - .actual_access:  read_only
        .address_space:  global
        .offset:         16
        .size:           8
        .value_kind:     global_buffer
      - .actual_access:  read_only
        .address_space:  global
        .offset:         24
        .size:           8
        .value_kind:     global_buffer
      - .offset:         32
        .size:           8
        .value_kind:     by_value
      - .actual_access:  read_only
        .address_space:  global
        .offset:         40
        .size:           8
        .value_kind:     global_buffer
      - .actual_access:  read_only
        .address_space:  global
        .offset:         48
        .size:           8
        .value_kind:     global_buffer
      - .offset:         56
        .size:           4
        .value_kind:     by_value
      - .actual_access:  read_only
        .address_space:  global
        .offset:         64
        .size:           8
        .value_kind:     global_buffer
      - .actual_access:  read_only
        .address_space:  global
        .offset:         72
        .size:           8
        .value_kind:     global_buffer
      - .address_space:  global
        .offset:         80
        .size:           8
        .value_kind:     global_buffer
    .group_segment_fixed_size: 0
    .kernarg_segment_align: 8
    .kernarg_segment_size: 88
    .language:       OpenCL C
    .language_version:
      - 2
      - 0
    .max_flat_workgroup_size: 192
    .name:           fft_rtc_fwd_len96_factors_3_4_8_wgs_192_tpt_8_dim2_sp_ip_CI_sbcc_twdbase8_2step_dirReg
    .private_segment_fixed_size: 0
    .sgpr_count:     30
    .sgpr_spill_count: 0
    .symbol:         fft_rtc_fwd_len96_factors_3_4_8_wgs_192_tpt_8_dim2_sp_ip_CI_sbcc_twdbase8_2step_dirReg.kd
    .uniform_work_group_size: 1
    .uses_dynamic_stack: false
    .vgpr_count:     122
    .vgpr_spill_count: 0
    .wavefront_size: 64
amdhsa.target:   amdgcn-amd-amdhsa--gfx950
amdhsa.version:
  - 1
  - 2
...

	.end_amdgpu_metadata
